;; amdgpu-corpus repo=ROCm/rocFFT kind=compiled arch=gfx950 opt=O3
	.text
	.amdgcn_target "amdgcn-amd-amdhsa--gfx950"
	.amdhsa_code_object_version 6
	.protected	bluestein_single_fwd_len294_dim1_dp_op_CI_CI ; -- Begin function bluestein_single_fwd_len294_dim1_dp_op_CI_CI
	.globl	bluestein_single_fwd_len294_dim1_dp_op_CI_CI
	.p2align	8
	.type	bluestein_single_fwd_len294_dim1_dp_op_CI_CI,@function
bluestein_single_fwd_len294_dim1_dp_op_CI_CI: ; @bluestein_single_fwd_len294_dim1_dp_op_CI_CI
; %bb.0:
	s_load_dwordx4 s[12:15], s[0:1], 0x28
	v_mul_u32_u24_e32 v1, 0x619, v0
	v_lshrrev_b32_e32 v2, 16, v1
	v_mad_u64_u32 v[124:125], s[2:3], s2, 3, v[2:3]
	v_mov_b32_e32 v123, 0
	v_mov_b32_e32 v125, v123
	s_waitcnt lgkmcnt(0)
	v_cmp_gt_u64_e32 vcc, s[12:13], v[124:125]
	s_and_saveexec_b64 s[2:3], vcc
	s_cbranch_execz .LBB0_15
; %bb.1:
	s_load_dwordx4 s[4:7], s[0:1], 0x18
	s_load_dwordx2 s[12:13], s[0:1], 0x0
	v_mul_lo_u16_e32 v1, 42, v2
	v_sub_u16_e32 v122, v0, v1
	v_mov_b32_e32 v4, s14
	s_waitcnt lgkmcnt(0)
	s_load_dwordx4 s[8:11], s[4:5], 0x0
	v_mov_b32_e32 v5, s15
	v_lshlrev_b32_e32 v50, 4, v122
	v_mov_b32_e32 v51, v123
	v_lshl_add_u64 v[120:121], s[12:13], 0, v[50:51]
	s_waitcnt lgkmcnt(0)
	v_mad_u64_u32 v[0:1], s[2:3], s10, v124, 0
	v_mov_b32_e32 v2, v1
	v_mad_u64_u32 v[2:3], s[2:3], s11, v124, v[2:3]
	v_mov_b32_e32 v1, v2
	;; [unrolled: 2-line block ×3, first 2 shown]
	v_mad_u64_u32 v[6:7], s[2:3], s9, v122, v[6:7]
	s_mul_i32 s2, s9, 49
	s_mul_hi_u32 s3, s8, 49
	v_mov_b32_e32 v3, v6
	v_lshl_add_u64 v[0:1], v[0:1], 4, v[4:5]
	s_add_i32 s3, s3, s2
	s_mul_i32 s2, s8, 49
	v_lshl_add_u64 v[4:5], v[2:3], 4, v[0:1]
	s_lshl_b64 s[14:15], s[2:3], 4
	global_load_dwordx4 v[0:3], v50, s[12:13]
	global_load_dwordx4 v[26:29], v[4:5], off
	v_lshl_add_u64 v[4:5], v[4:5], 0, s[14:15]
	global_load_dwordx4 v[30:33], v[4:5], off
	global_load_dwordx4 v[20:23], v50, s[12:13] offset:784
	v_lshl_add_u64 v[8:9], v[4:5], 0, s[14:15]
	global_load_dwordx4 v[4:7], v50, s[12:13] offset:1568
	global_load_dwordx4 v[34:37], v[8:9], off
	v_lshl_add_u64 v[8:9], v[8:9], 0, s[14:15]
	global_load_dwordx4 v[38:41], v[8:9], off
	global_load_dwordx4 v[16:19], v50, s[12:13] offset:2352
	v_lshl_add_u64 v[12:13], v[8:9], 0, s[14:15]
	global_load_dwordx4 v[42:45], v[12:13], off
	global_load_dwordx4 v[8:11], v50, s[12:13] offset:3136
	v_lshl_add_u64 v[24:25], v[12:13], 0, s[14:15]
	global_load_dwordx4 v[12:15], v50, s[12:13] offset:3920
	global_load_dwordx4 v[46:49], v[24:25], off
	s_mov_b32 s2, 0xaaaaaaab
	v_mul_hi_u32 v52, v124, s2
	v_lshrrev_b32_e32 v52, 1, v52
	v_lshl_add_u32 v52, v52, 1, v52
	v_sub_u32_e32 v52, v124, v52
	v_mul_u32_u24_e32 v52, 0x126, v52
	v_lshlrev_b32_e32 v126, 4, v52
	v_add_u32_e32 v125, v50, v126
	s_load_dwordx2 s[10:11], s[0:1], 0x38
	v_cmp_gt_u16_e32 vcc, 7, v122
	s_load_dwordx4 s[4:7], s[6:7], 0x0
	s_waitcnt vmcnt(10)
	v_mul_f64 v[50:51], v[28:29], v[2:3]
	v_mul_f64 v[52:53], v[26:27], v[2:3]
	v_fmac_f64_e32 v[50:51], v[26:27], v[0:1]
	v_fma_f64 v[52:53], v[28:29], v[0:1], -v[52:53]
	s_waitcnt vmcnt(8)
	v_mul_f64 v[26:27], v[32:33], v[22:23]
	v_mul_f64 v[28:29], v[30:31], v[22:23]
	v_fmac_f64_e32 v[26:27], v[30:31], v[20:21]
	v_fma_f64 v[28:29], v[32:33], v[20:21], -v[28:29]
	s_waitcnt vmcnt(6)
	v_mul_f64 v[30:31], v[36:37], v[6:7]
	v_mul_f64 v[32:33], v[34:35], v[6:7]
	ds_write_b128 v125, v[26:29] offset:784
	s_waitcnt vmcnt(4)
	v_mul_f64 v[26:27], v[40:41], v[18:19]
	v_mul_f64 v[28:29], v[38:39], v[18:19]
	v_fmac_f64_e32 v[30:31], v[34:35], v[4:5]
	v_fma_f64 v[32:33], v[36:37], v[4:5], -v[32:33]
	v_fmac_f64_e32 v[26:27], v[38:39], v[16:17]
	v_fma_f64 v[28:29], v[40:41], v[16:17], -v[28:29]
	ds_write_b128 v125, v[30:33] offset:1568
	s_waitcnt vmcnt(2)
	v_mul_f64 v[30:31], v[44:45], v[10:11]
	v_mul_f64 v[32:33], v[42:43], v[10:11]
	ds_write_b128 v125, v[26:29] offset:2352
	s_waitcnt vmcnt(0)
	v_mul_f64 v[26:27], v[48:49], v[14:15]
	v_mul_f64 v[28:29], v[46:47], v[14:15]
	v_fmac_f64_e32 v[30:31], v[42:43], v[8:9]
	v_fma_f64 v[32:33], v[44:45], v[8:9], -v[32:33]
	v_fmac_f64_e32 v[26:27], v[46:47], v[12:13]
	v_fma_f64 v[28:29], v[48:49], v[12:13], -v[28:29]
	ds_write_b128 v125, v[50:53]
	ds_write_b128 v125, v[30:33] offset:3136
	ds_write_b128 v125, v[26:29] offset:3920
	s_and_saveexec_b64 s[16:17], vcc
	s_cbranch_execz .LBB0_3
; %bb.2:
	v_mov_b32_e32 v26, 0xfffff350
	v_mad_u64_u32 v[32:33], s[2:3], s8, v26, v[24:25]
	s_mul_i32 s2, s9, 0xfffff350
	s_sub_i32 s2, s2, s8
	v_add_u32_e32 v33, s2, v33
	global_load_dwordx4 v[24:27], v[32:33], off
	global_load_dwordx4 v[28:31], v[120:121], off offset:672
	v_lshl_add_u64 v[40:41], v[32:33], 0, s[14:15]
	global_load_dwordx4 v[32:35], v[40:41], off
	global_load_dwordx4 v[36:39], v[120:121], off offset:1456
	v_lshl_add_u64 v[56:57], v[40:41], 0, s[14:15]
	v_lshl_add_u64 v[60:61], v[56:57], 0, s[14:15]
	s_movk_i32 s2, 0x1000
	global_load_dwordx4 v[40:43], v[56:57], off
	global_load_dwordx4 v[44:47], v[120:121], off offset:2240
	global_load_dwordx4 v[48:51], v[120:121], off offset:3024
	;; [unrolled: 1-line block ×3, first 2 shown]
	v_lshl_add_u64 v[68:69], v[60:61], 0, s[14:15]
	global_load_dwordx4 v[56:59], v[60:61], off
	v_add_co_u32_e64 v64, s[2:3], s2, v120
	global_load_dwordx4 v[60:63], v[68:69], off
	s_nop 0
	v_addc_co_u32_e64 v65, s[2:3], 0, v121, s[2:3]
	v_lshl_add_u64 v[68:69], v[68:69], 0, s[14:15]
	global_load_dwordx4 v[64:67], v[64:65], off offset:496
	s_waitcnt vmcnt(9)
	v_mul_f64 v[72:73], v[26:27], v[30:31]
	global_load_dwordx4 v[68:71], v[68:69], off
	v_mul_f64 v[30:31], v[24:25], v[30:31]
	v_fmac_f64_e32 v[72:73], v[24:25], v[28:29]
	v_fma_f64 v[74:75], v[26:27], v[28:29], -v[30:31]
	s_waitcnt vmcnt(8)
	v_mul_f64 v[24:25], v[34:35], v[38:39]
	v_mul_f64 v[26:27], v[32:33], v[38:39]
	v_fmac_f64_e32 v[24:25], v[32:33], v[36:37]
	v_fma_f64 v[26:27], v[34:35], v[36:37], -v[26:27]
	s_waitcnt vmcnt(6)
	v_mul_f64 v[28:29], v[42:43], v[46:47]
	v_mul_f64 v[30:31], v[40:41], v[46:47]
	ds_write_b128 v125, v[24:27] offset:1456
	s_waitcnt vmcnt(3)
	v_mul_f64 v[24:25], v[58:59], v[50:51]
	v_mul_f64 v[26:27], v[56:57], v[50:51]
	v_fmac_f64_e32 v[28:29], v[40:41], v[44:45]
	v_fma_f64 v[30:31], v[42:43], v[44:45], -v[30:31]
	v_fmac_f64_e32 v[24:25], v[56:57], v[48:49]
	v_fma_f64 v[26:27], v[58:59], v[48:49], -v[26:27]
	ds_write_b128 v125, v[28:31] offset:2240
	s_waitcnt vmcnt(2)
	v_mul_f64 v[28:29], v[62:63], v[54:55]
	v_mul_f64 v[30:31], v[60:61], v[54:55]
	ds_write_b128 v125, v[24:27] offset:3024
	v_fmac_f64_e32 v[28:29], v[60:61], v[52:53]
	v_fma_f64 v[30:31], v[62:63], v[52:53], -v[30:31]
	ds_write_b128 v125, v[72:75] offset:672
	ds_write_b128 v125, v[28:31] offset:3808
	s_waitcnt vmcnt(0)
	v_mul_f64 v[24:25], v[70:71], v[66:67]
	v_mul_f64 v[26:27], v[68:69], v[66:67]
	v_fmac_f64_e32 v[24:25], v[68:69], v[64:65]
	v_fma_f64 v[26:27], v[70:71], v[64:65], -v[26:27]
	ds_write_b128 v125, v[24:27] offset:4592
.LBB0_3:
	s_or_b64 exec, exec, s[16:17]
	s_waitcnt lgkmcnt(0)
	s_barrier
	ds_read_b128 v[24:27], v125
	ds_read_b128 v[46:49], v125 offset:784
	ds_read_b128 v[66:69], v125 offset:1568
	;; [unrolled: 1-line block ×5, first 2 shown]
	s_load_dwordx2 s[0:1], s[0:1], 0x8
                                        ; implicit-def: $vgpr38_vgpr39
                                        ; implicit-def: $vgpr30_vgpr31
                                        ; implicit-def: $vgpr42_vgpr43
                                        ; implicit-def: $vgpr34_vgpr35
                                        ; implicit-def: $vgpr54_vgpr55
                                        ; implicit-def: $vgpr50_vgpr51
	s_and_saveexec_b64 s[2:3], vcc
	s_cbranch_execz .LBB0_5
; %bb.4:
	ds_read_b128 v[38:41], v125 offset:672
	ds_read_b128 v[30:33], v125 offset:1456
	ds_read_b128 v[42:45], v125 offset:2240
	ds_read_b128 v[34:37], v125 offset:3024
	ds_read_b128 v[54:57], v125 offset:3808
	ds_read_b128 v[50:53], v125 offset:4592
.LBB0_5:
	s_or_b64 exec, exec, s[2:3]
	s_waitcnt lgkmcnt(0)
	v_add_f64 v[74:75], v[66:67], v[70:71]
	s_mov_b32 s8, 0xe8584caa
	v_add_f64 v[28:29], v[24:25], v[66:67]
	v_fmac_f64_e32 v[24:25], -0.5, v[74:75]
	v_add_f64 v[74:75], v[68:69], -v[72:73]
	s_mov_b32 s9, 0x3febb67a
	s_mov_b32 s3, 0xbfebb67a
	;; [unrolled: 1-line block ×3, first 2 shown]
	v_fma_f64 v[76:77], s[8:9], v[74:75], v[24:25]
	v_fmac_f64_e32 v[24:25], s[2:3], v[74:75]
	v_add_f64 v[74:75], v[26:27], v[68:69]
	v_add_f64 v[68:69], v[68:69], v[72:73]
	v_fmac_f64_e32 v[26:27], -0.5, v[68:69]
	v_add_f64 v[66:67], v[66:67], -v[70:71]
	v_fma_f64 v[68:69], s[2:3], v[66:67], v[26:27]
	v_fmac_f64_e32 v[26:27], s[8:9], v[66:67]
	v_add_f64 v[66:67], v[46:47], v[58:59]
	v_add_f64 v[80:81], v[74:75], v[72:73]
	;; [unrolled: 1-line block ×4, first 2 shown]
	v_fmac_f64_e32 v[46:47], -0.5, v[66:67]
	v_add_f64 v[66:67], v[60:61], -v[64:65]
	v_fma_f64 v[72:73], s[8:9], v[66:67], v[46:47]
	v_fmac_f64_e32 v[46:47], s[2:3], v[66:67]
	v_add_f64 v[66:67], v[48:49], v[60:61]
	v_add_f64 v[60:61], v[60:61], v[64:65]
	v_fmac_f64_e32 v[48:49], -0.5, v[60:61]
	v_add_f64 v[58:59], v[58:59], -v[62:63]
	v_add_f64 v[84:85], v[66:67], v[64:65]
	v_fma_f64 v[66:67], s[2:3], v[58:59], v[48:49]
	v_fmac_f64_e32 v[48:49], s[8:9], v[58:59]
	v_mul_f64 v[82:83], v[46:47], -0.5
	v_fmac_f64_e32 v[82:83], s[8:9], v[48:49]
	v_add_f64 v[28:29], v[28:29], v[70:71]
	v_add_f64 v[70:71], v[24:25], v[82:83]
	v_mul_f64 v[48:49], v[48:49], -0.5
	v_add_f64 v[82:83], v[24:25], -v[82:83]
	v_add_f64 v[24:25], v[38:39], v[42:43]
	v_mul_f64 v[58:59], v[66:67], s[8:9]
	v_fmac_f64_e32 v[48:49], s[2:3], v[46:47]
	v_add_f64 v[46:47], v[24:25], v[54:55]
	v_add_f64 v[24:25], v[42:43], v[54:55]
	v_fmac_f64_e32 v[58:59], 0.5, v[72:73]
	v_fmac_f64_e32 v[38:39], -0.5, v[24:25]
	v_add_f64 v[24:25], v[44:45], -v[56:57]
	v_add_f64 v[64:65], v[76:77], v[58:59]
	v_add_f64 v[62:63], v[80:81], v[84:85]
	v_mul_f64 v[88:89], v[72:73], s[2:3]
	v_add_f64 v[72:73], v[26:27], v[48:49]
	v_add_f64 v[78:79], v[76:77], -v[58:59]
	v_add_f64 v[76:77], v[80:81], -v[84:85]
	;; [unrolled: 1-line block ×3, first 2 shown]
	v_fma_f64 v[48:49], s[8:9], v[24:25], v[38:39]
	v_fmac_f64_e32 v[38:39], s[2:3], v[24:25]
	v_add_f64 v[24:25], v[40:41], v[44:45]
	v_add_f64 v[58:59], v[24:25], v[56:57]
	v_add_f64 v[24:25], v[44:45], v[56:57]
	v_fmac_f64_e32 v[40:41], -0.5, v[24:25]
	v_add_f64 v[24:25], v[42:43], -v[54:55]
	v_fma_f64 v[54:55], s[2:3], v[24:25], v[40:41]
	v_fmac_f64_e32 v[40:41], s[8:9], v[24:25]
	v_add_f64 v[24:25], v[30:31], v[34:35]
	v_add_f64 v[42:43], v[24:25], v[50:51]
	v_add_f64 v[24:25], v[34:35], v[50:51]
	v_fmac_f64_e32 v[30:31], -0.5, v[24:25]
	v_add_f64 v[24:25], v[36:37], -v[52:53]
	;; [unrolled: 7-line block ×3, first 2 shown]
	v_fma_f64 v[34:35], s[2:3], v[24:25], v[32:33]
	v_fmac_f64_e32 v[32:33], s[8:9], v[24:25]
	v_fmac_f64_e32 v[88:89], 0.5, v[66:67]
	v_mul_f64 v[36:37], v[34:35], s[8:9]
	v_mul_f64 v[50:51], v[30:31], -0.5
	v_mul_f64 v[52:53], v[26:27], s[2:3]
	v_mul_f64 v[56:57], v[32:33], -0.5
	v_lshl_add_u64 v[86:87], v[122:123], 0, 42
	v_add_f64 v[66:67], v[68:69], v[88:89]
	v_add_f64 v[80:81], v[68:69], -v[88:89]
	v_fmac_f64_e32 v[36:37], 0.5, v[26:27]
	v_fmac_f64_e32 v[50:51], s[8:9], v[32:33]
	v_fmac_f64_e32 v[52:53], 0.5, v[34:35]
	v_fmac_f64_e32 v[56:57], s[2:3], v[30:31]
	v_mul_u32_u24_e32 v68, 6, v122
	v_add_f64 v[60:61], v[28:29], v[74:75]
	v_add_f64 v[74:75], v[28:29], -v[74:75]
	v_add_f64 v[24:25], v[48:49], v[36:37]
	v_add_f64 v[28:29], v[38:39], v[50:51]
	;; [unrolled: 1-line block ×4, first 2 shown]
	v_add_f64 v[32:33], v[46:47], -v[42:43]
	v_add_f64 v[36:37], v[48:49], -v[36:37]
	;; [unrolled: 1-line block ×6, first 2 shown]
	v_lshl_add_u32 v127, v68, 4, v126
	v_mul_u32_u24_e32 v123, 6, v86
	s_barrier
	ds_write_b128 v127, v[60:63]
	ds_write_b128 v127, v[64:67] offset:16
	ds_write_b128 v127, v[70:73] offset:32
	;; [unrolled: 1-line block ×5, first 2 shown]
	s_and_saveexec_b64 s[2:3], vcc
	s_cbranch_execz .LBB0_7
; %bb.6:
	v_add_f64 v[44:45], v[58:59], v[44:45]
	v_add_f64 v[42:43], v[46:47], v[42:43]
	v_lshl_add_u32 v40, v123, 4, v126
	ds_write_b128 v40, v[42:45]
	ds_write_b128 v40, v[24:27] offset:16
	ds_write_b128 v40, v[28:31] offset:32
	;; [unrolled: 1-line block ×5, first 2 shown]
.LBB0_7:
	s_or_b64 exec, exec, s[2:3]
	s_movk_i32 s2, 0xab
	v_mul_lo_u16_sdwa v40, v122, s2 dst_sel:DWORD dst_unused:UNUSED_PAD src0_sel:BYTE_0 src1_sel:DWORD
	v_lshrrev_b16_e32 v69, 10, v40
	v_mul_lo_u16_e32 v40, 6, v69
	v_sub_u16_e32 v130, v122, v40
	v_mov_b32_e32 v40, 6
	v_mul_u32_u24_sdwa v40, v130, v40 dst_sel:DWORD dst_unused:UNUSED_PAD src0_sel:BYTE_0 src1_sel:DWORD
	v_lshlrev_b32_e32 v70, 4, v40
	s_waitcnt lgkmcnt(0)
	s_barrier
	global_load_dwordx4 v[56:59], v70, s[0:1]
	global_load_dwordx4 v[52:55], v70, s[0:1] offset:16
	global_load_dwordx4 v[44:47], v70, s[0:1] offset:32
	;; [unrolled: 1-line block ×5, first 2 shown]
	ds_read_b128 v[70:73], v125
	ds_read_b128 v[74:77], v125 offset:672
	ds_read_b128 v[78:81], v125 offset:1344
	;; [unrolled: 1-line block ×6, first 2 shown]
	s_mov_b32 s14, 0x37e14327
	s_mov_b32 s2, 0x36b3c0b5
	;; [unrolled: 1-line block ×20, first 2 shown]
	v_mul_u32_u24_e32 v69, 42, v69
	v_add_u32_sdwa v69, v69, v130 dst_sel:DWORD dst_unused:UNUSED_PAD src0_sel:DWORD src1_sel:BYTE_0
	s_waitcnt lgkmcnt(0)
	s_barrier
	s_waitcnt vmcnt(5)
	v_mul_f64 v[98:99], v[76:77], v[58:59]
	v_mul_f64 v[100:101], v[74:75], v[58:59]
	s_waitcnt vmcnt(4)
	v_mul_f64 v[102:103], v[80:81], v[54:55]
	s_waitcnt vmcnt(3)
	v_mul_f64 v[106:107], v[84:85], v[46:47]
	v_mul_f64 v[108:109], v[82:83], v[46:47]
	s_waitcnt vmcnt(1)
	v_mul_f64 v[114:115], v[92:93], v[66:67]
	s_waitcnt vmcnt(0)
	v_mul_f64 v[118:119], v[96:97], v[62:63]
	v_mul_f64 v[104:105], v[78:79], v[54:55]
	;; [unrolled: 1-line block ×5, first 2 shown]
	v_fma_f64 v[74:75], v[74:75], v[56:57], -v[98:99]
	v_fmac_f64_e32 v[100:101], v[76:77], v[56:57]
	v_fma_f64 v[76:77], v[78:79], v[52:53], -v[102:103]
	v_fma_f64 v[78:79], v[82:83], v[44:45], -v[106:107]
	v_fmac_f64_e32 v[108:109], v[84:85], v[44:45]
	v_fma_f64 v[82:83], v[90:91], v[64:65], -v[114:115]
	v_fma_f64 v[84:85], v[94:95], v[60:61], -v[118:119]
	v_mul_f64 v[112:113], v[86:87], v[42:43]
	v_fmac_f64_e32 v[104:105], v[80:81], v[52:53]
	v_fma_f64 v[80:81], v[86:87], v[40:41], -v[110:111]
	v_fmac_f64_e32 v[116:117], v[92:93], v[64:65]
	v_fmac_f64_e32 v[128:129], v[96:97], v[60:61]
	v_add_f64 v[86:87], v[74:75], v[84:85]
	v_add_f64 v[90:91], v[76:77], v[82:83]
	v_fmac_f64_e32 v[112:113], v[88:89], v[40:41]
	v_add_f64 v[88:89], v[100:101], v[128:129]
	v_add_f64 v[92:93], v[104:105], v[116:117]
	;; [unrolled: 1-line block ×4, first 2 shown]
	v_add_f64 v[74:75], v[74:75], -v[84:85]
	v_add_f64 v[84:85], v[100:101], -v[128:129]
	v_add_f64 v[96:97], v[108:109], v[112:113]
	v_add_f64 v[100:101], v[92:93], v[88:89]
	v_add_f64 v[102:103], v[90:91], -v[86:87]
	v_add_f64 v[86:87], v[86:87], -v[94:95]
	;; [unrolled: 1-line block ×3, first 2 shown]
	v_add_f64 v[94:95], v[94:95], v[98:99]
	v_add_f64 v[76:77], v[76:77], -v[82:83]
	v_add_f64 v[82:83], v[104:105], -v[116:117]
	;; [unrolled: 1-line block ×6, first 2 shown]
	v_add_f64 v[96:97], v[96:97], v[100:101]
	v_add_f64 v[70:71], v[70:71], v[94:95]
	v_add_f64 v[80:81], v[112:113], -v[108:109]
	v_add_f64 v[106:107], v[78:79], v[76:77]
	v_add_f64 v[110:111], v[78:79], -v[76:77]
	v_add_f64 v[76:77], v[76:77], -v[74:75]
	v_add_f64 v[72:73], v[72:73], v[96:97]
	v_mov_b64_e32 v[114:115], v[70:71]
	v_add_f64 v[108:109], v[80:81], v[82:83]
	v_add_f64 v[112:113], v[80:81], -v[82:83]
	v_add_f64 v[78:79], v[74:75], -v[78:79]
	v_add_f64 v[82:83], v[82:83], -v[84:85]
	v_add_f64 v[74:75], v[106:107], v[74:75]
	v_mul_f64 v[86:87], v[86:87], s[14:15]
	v_mul_f64 v[88:89], v[88:89], s[14:15]
	;; [unrolled: 1-line block ×6, first 2 shown]
	v_fmac_f64_e32 v[114:115], s[18:19], v[94:95]
	v_mov_b64_e32 v[94:95], v[72:73]
	v_add_f64 v[80:81], v[84:85], -v[80:81]
	v_add_f64 v[84:85], v[108:109], v[84:85]
	v_mul_f64 v[108:109], v[112:113], s[8:9]
	v_mul_f64 v[112:113], v[82:83], s[16:17]
	v_fmac_f64_e32 v[94:95], s[18:19], v[96:97]
	v_fma_f64 v[96:97], v[102:103], s[20:21], -v[98:99]
	v_fma_f64 v[98:99], v[104:105], s[20:21], -v[100:101]
	v_fma_f64 v[100:101], v[102:103], s[26:27], -v[86:87]
	v_fmac_f64_e32 v[86:87], s[2:3], v[90:91]
	v_fma_f64 v[90:91], v[104:105], s[26:27], -v[88:89]
	v_fmac_f64_e32 v[88:89], s[2:3], v[92:93]
	v_fma_f64 v[92:93], v[76:77], s[16:17], -v[106:107]
	v_fma_f64 v[104:105], v[78:79], s[28:29], -v[110:111]
	v_fmac_f64_e32 v[106:107], s[22:23], v[78:79]
	v_fma_f64 v[102:103], v[82:83], s[16:17], -v[108:109]
	v_fmac_f64_e32 v[108:109], s[22:23], v[80:81]
	v_fma_f64 v[110:111], v[80:81], s[28:29], -v[112:113]
	v_add_f64 v[116:117], v[88:89], v[94:95]
	v_add_f64 v[88:89], v[98:99], v[94:95]
	;; [unrolled: 1-line block ×3, first 2 shown]
	v_fmac_f64_e32 v[92:93], s[24:25], v[74:75]
	v_fmac_f64_e32 v[104:105], s[24:25], v[74:75]
	v_add_f64 v[112:113], v[86:87], v[114:115]
	v_add_f64 v[86:87], v[96:97], v[114:115]
	;; [unrolled: 1-line block ×3, first 2 shown]
	v_fmac_f64_e32 v[106:107], s[24:25], v[74:75]
	v_fmac_f64_e32 v[108:109], s[24:25], v[84:85]
	;; [unrolled: 1-line block ×4, first 2 shown]
	v_add_f64 v[84:85], v[92:93], v[88:89]
	v_add_f64 v[88:89], v[88:89], -v[92:93]
	v_add_f64 v[92:93], v[104:105], v[94:95]
	v_lshl_add_u32 v128, v69, 4, v126
	v_add_f64 v[74:75], v[108:109], v[112:113]
	v_add_f64 v[76:77], v[116:117], -v[106:107]
	v_add_f64 v[78:79], v[110:111], v[96:97]
	v_add_f64 v[80:81], v[94:95], -v[104:105]
	v_add_f64 v[82:83], v[86:87], -v[102:103]
	v_add_f64 v[86:87], v[102:103], v[86:87]
	v_add_f64 v[90:91], v[96:97], -v[110:111]
	v_add_f64 v[94:95], v[112:113], -v[108:109]
	v_add_f64 v[96:97], v[106:107], v[116:117]
	ds_write_b128 v128, v[70:73]
	ds_write_b128 v128, v[74:77] offset:96
	ds_write_b128 v128, v[78:81] offset:192
	;; [unrolled: 1-line block ×6, first 2 shown]
	v_lshlrev_b32_e32 v92, 4, v68
	s_waitcnt lgkmcnt(0)
	s_barrier
	global_load_dwordx4 v[80:83], v92, s[0:1] offset:576
	global_load_dwordx4 v[76:79], v92, s[0:1] offset:592
	global_load_dwordx4 v[72:75], v92, s[0:1] offset:608
	global_load_dwordx4 v[68:71], v92, s[0:1] offset:624
	global_load_dwordx4 v[88:91], v92, s[0:1] offset:640
	global_load_dwordx4 v[84:87], v92, s[0:1] offset:656
	ds_read_b128 v[92:95], v125
	ds_read_b128 v[96:99], v125 offset:672
	ds_read_b128 v[100:103], v125 offset:1344
	;; [unrolled: 1-line block ×6, first 2 shown]
	s_waitcnt vmcnt(5) lgkmcnt(5)
	v_mul_f64 v[130:131], v[98:99], v[82:83]
	v_fma_f64 v[130:131], v[96:97], v[80:81], -v[130:131]
	v_mul_f64 v[96:97], v[96:97], v[82:83]
	v_fmac_f64_e32 v[96:97], v[98:99], v[80:81]
	s_waitcnt vmcnt(4) lgkmcnt(4)
	v_mul_f64 v[98:99], v[102:103], v[78:79]
	v_fma_f64 v[98:99], v[100:101], v[76:77], -v[98:99]
	v_mul_f64 v[100:101], v[100:101], v[78:79]
	v_fmac_f64_e32 v[100:101], v[102:103], v[76:77]
	;; [unrolled: 5-line block ×6, first 2 shown]
	v_add_f64 v[118:119], v[130:131], v[114:115]
	v_add_f64 v[132:133], v[96:97], v[116:117]
	v_add_f64 v[116:117], v[96:97], -v[116:117]
	v_add_f64 v[96:97], v[98:99], v[110:111]
	v_add_f64 v[114:115], v[130:131], -v[114:115]
	;; [unrolled: 2-line block ×6, first 2 shown]
	v_add_f64 v[108:109], v[130:131], v[132:133]
	v_add_f64 v[106:107], v[98:99], v[106:107]
	v_add_f64 v[134:135], v[96:97], -v[118:119]
	v_add_f64 v[136:137], v[130:131], -v[132:133]
	;; [unrolled: 1-line block ×5, first 2 shown]
	v_add_f64 v[140:141], v[102:103], v[110:111]
	v_add_f64 v[108:109], v[112:113], v[108:109]
	;; [unrolled: 1-line block ×4, first 2 shown]
	v_add_f64 v[130:131], v[112:113], -v[130:131]
	v_add_f64 v[98:99], v[94:95], v[108:109]
	v_add_f64 v[94:95], v[102:103], -v[110:111]
	v_add_f64 v[102:103], v[114:115], -v[102:103]
	;; [unrolled: 1-line block ×3, first 2 shown]
	v_add_f64 v[112:113], v[140:141], v[114:115]
	v_add_f64 v[114:115], v[104:105], -v[100:101]
	v_add_f64 v[104:105], v[116:117], -v[104:105]
	;; [unrolled: 1-line block ×3, first 2 shown]
	v_add_f64 v[92:93], v[92:93], v[116:117]
	v_mul_f64 v[116:117], v[118:119], s[14:15]
	v_mul_f64 v[118:119], v[132:133], s[14:15]
	v_mov_b64_e32 v[132:133], v[96:97]
	v_fmac_f64_e32 v[132:133], s[18:19], v[106:107]
	v_mov_b64_e32 v[106:107], v[98:99]
	v_fmac_f64_e32 v[106:107], s[18:19], v[108:109]
	v_mul_f64 v[108:109], v[138:139], s[2:3]
	v_fma_f64 v[138:139], s[2:3], v[138:139], v[116:117]
	v_fma_f64 v[108:109], v[134:135], s[20:21], -v[108:109]
	v_fma_f64 v[116:117], v[134:135], s[26:27], -v[116:117]
	v_mul_f64 v[134:135], v[130:131], s[2:3]
	v_mul_f64 v[94:95], v[94:95], s[8:9]
	;; [unrolled: 1-line block ×3, first 2 shown]
	v_fma_f64 v[114:115], v[136:137], s[20:21], -v[134:135]
	v_fma_f64 v[134:135], v[136:137], s[26:27], -v[118:119]
	v_fmac_f64_e32 v[118:119], s[2:3], v[130:131]
	v_mul_f64 v[130:131], v[110:111], s[16:17]
	v_fma_f64 v[110:111], v[110:111], s[16:17], -v[94:95]
	v_fma_f64 v[94:95], s[22:23], v[102:103], v[94:95]
	v_fma_f64 v[130:131], v[102:103], s[28:29], -v[130:131]
	v_mul_f64 v[102:103], v[100:101], s[16:17]
	v_fma_f64 v[136:137], v[100:101], s[16:17], -v[140:141]
	v_fmac_f64_e32 v[140:141], s[22:23], v[104:105]
	v_fma_f64 v[142:143], v[104:105], s[28:29], -v[102:103]
	v_lshlrev_b32_e32 v100, 4, v122
	v_mov_b32_e32 v101, 0
	v_lshl_add_u64 v[144:145], s[12:13], 0, v[100:101]
	v_add_f64 v[138:139], v[138:139], v[132:133]
	v_add_f64 v[146:147], v[118:119], v[106:107]
	;; [unrolled: 1-line block ×6, first 2 shown]
	v_fmac_f64_e32 v[94:95], s[24:25], v[112:113]
	v_fmac_f64_e32 v[140:141], s[24:25], v[92:93]
	;; [unrolled: 1-line block ×6, first 2 shown]
	s_movk_i32 s8, 0x1000
	v_add_f64 v[100:101], v[140:141], v[138:139]
	v_add_f64 v[102:103], v[146:147], -v[94:95]
	v_add_f64 v[104:105], v[108:109], -v[136:137]
	v_add_f64 v[106:107], v[110:111], v[114:115]
	v_add_f64 v[108:109], v[136:137], v[108:109]
	v_add_f64 v[110:111], v[114:115], -v[110:111]
	v_add_f64 v[112:113], v[142:143], v[116:117]
	v_add_f64 v[114:115], v[118:119], -v[130:131]
	v_add_f64 v[116:117], v[116:117], -v[142:143]
	v_add_f64 v[118:119], v[130:131], v[118:119]
	v_add_f64 v[92:93], v[138:139], -v[140:141]
	v_add_f64 v[94:95], v[94:95], v[146:147]
	ds_write_b128 v125, v[96:99]
	ds_write_b128 v125, v[100:103] offset:672
	ds_write_b128 v125, v[112:115] offset:1344
	;; [unrolled: 1-line block ×6, first 2 shown]
	v_add_co_u32_e64 v96, s[0:1], s8, v144
	s_waitcnt lgkmcnt(0)
	s_nop 0
	v_addc_co_u32_e64 v97, s[0:1], 0, v145, s[0:1]
	s_barrier
	global_load_dwordx4 v[98:101], v[96:97], off offset:608
	s_mov_b64 s[0:1], 0x1260
	v_lshl_add_u64 v[96:97], v[144:145], 0, s[0:1]
	global_load_dwordx4 v[102:105], v[96:97], off offset:784
	global_load_dwordx4 v[106:109], v[96:97], off offset:1568
	global_load_dwordx4 v[110:113], v[96:97], off offset:2352
	global_load_dwordx4 v[114:117], v[96:97], off offset:3136
	global_load_dwordx4 v[130:133], v[96:97], off offset:3920
	ds_read_b128 v[134:137], v125
	ds_read_b128 v[138:141], v125 offset:784
	s_waitcnt vmcnt(5) lgkmcnt(1)
	v_mul_f64 v[118:119], v[136:137], v[100:101]
	v_mul_f64 v[144:145], v[134:135], v[100:101]
	v_fma_f64 v[142:143], v[134:135], v[98:99], -v[118:119]
	v_fmac_f64_e32 v[144:145], v[136:137], v[98:99]
	s_waitcnt vmcnt(4) lgkmcnt(0)
	v_mul_f64 v[98:99], v[140:141], v[104:105]
	ds_read_b128 v[134:137], v125 offset:1568
	v_mul_f64 v[100:101], v[138:139], v[104:105]
	v_fma_f64 v[98:99], v[138:139], v[102:103], -v[98:99]
	v_fmac_f64_e32 v[100:101], v[140:141], v[102:103]
	ds_write_b128 v125, v[98:101] offset:784
	ds_read_b128 v[98:101], v125 offset:2352
	s_waitcnt vmcnt(3) lgkmcnt(2)
	v_mul_f64 v[102:103], v[136:137], v[108:109]
	v_mul_f64 v[104:105], v[134:135], v[108:109]
	v_fma_f64 v[102:103], v[134:135], v[106:107], -v[102:103]
	v_fmac_f64_e32 v[104:105], v[136:137], v[106:107]
	ds_read_b128 v[106:109], v125 offset:3136
	ds_write_b128 v125, v[102:105] offset:1568
	s_waitcnt vmcnt(2) lgkmcnt(2)
	v_mul_f64 v[102:103], v[100:101], v[112:113]
	v_mul_f64 v[104:105], v[98:99], v[112:113]
	v_fma_f64 v[102:103], v[98:99], v[110:111], -v[102:103]
	v_fmac_f64_e32 v[104:105], v[100:101], v[110:111]
	ds_read_b128 v[98:101], v125 offset:3920
	ds_write_b128 v125, v[102:105] offset:2352
	s_waitcnt vmcnt(1) lgkmcnt(3)
	v_mul_f64 v[102:103], v[108:109], v[116:117]
	v_mul_f64 v[104:105], v[106:107], v[116:117]
	v_fma_f64 v[102:103], v[106:107], v[114:115], -v[102:103]
	v_fmac_f64_e32 v[104:105], v[108:109], v[114:115]
	ds_write_b128 v125, v[102:105] offset:3136
	s_waitcnt vmcnt(0) lgkmcnt(2)
	v_mul_f64 v[102:103], v[100:101], v[132:133]
	v_mul_f64 v[104:105], v[98:99], v[132:133]
	v_fma_f64 v[102:103], v[98:99], v[130:131], -v[102:103]
	v_fmac_f64_e32 v[104:105], v[100:101], v[130:131]
	ds_write_b128 v125, v[142:145]
	ds_write_b128 v125, v[102:105] offset:3920
	s_and_saveexec_b64 s[2:3], vcc
	s_cbranch_execz .LBB0_9
; %bb.8:
	global_load_dwordx4 v[98:101], v[96:97], off offset:672
	global_load_dwordx4 v[102:105], v[96:97], off offset:1456
	;; [unrolled: 1-line block ×5, first 2 shown]
	v_add_co_u32_e64 v96, s[0:1], s8, v96
	s_nop 1
	v_addc_co_u32_e64 v97, s[0:1], 0, v97, s[0:1]
	global_load_dwordx4 v[130:133], v[96:97], off offset:496
	ds_read_b128 v[134:137], v125 offset:672
	ds_read_b128 v[138:141], v125 offset:1456
	;; [unrolled: 1-line block ×6, first 2 shown]
	s_waitcnt vmcnt(5) lgkmcnt(5)
	v_mul_f64 v[96:97], v[136:137], v[100:101]
	v_mul_f64 v[118:119], v[134:135], v[100:101]
	s_waitcnt vmcnt(4) lgkmcnt(4)
	v_mul_f64 v[158:159], v[140:141], v[104:105]
	v_mul_f64 v[100:101], v[138:139], v[104:105]
	;; [unrolled: 3-line block ×5, first 2 shown]
	v_fma_f64 v[116:117], v[134:135], v[98:99], -v[96:97]
	v_fmac_f64_e32 v[118:119], v[136:137], v[98:99]
	v_fma_f64 v[98:99], v[138:139], v[102:103], -v[158:159]
	v_fmac_f64_e32 v[100:101], v[140:141], v[102:103]
	;; [unrolled: 2-line block ×5, first 2 shown]
	s_waitcnt vmcnt(0) lgkmcnt(0)
	v_mul_f64 v[96:97], v[156:157], v[132:133]
	v_mul_f64 v[114:115], v[154:155], v[132:133]
	ds_write_b128 v125, v[116:119] offset:672
	ds_write_b128 v125, v[98:101] offset:1456
	;; [unrolled: 1-line block ×5, first 2 shown]
	v_fma_f64 v[112:113], v[154:155], v[130:131], -v[96:97]
	v_fmac_f64_e32 v[114:115], v[156:157], v[130:131]
	ds_write_b128 v125, v[112:115] offset:4592
.LBB0_9:
	s_or_b64 exec, exec, s[2:3]
	s_waitcnt lgkmcnt(0)
	s_barrier
	ds_read_b128 v[96:99], v125
	ds_read_b128 v[100:103], v125 offset:784
	ds_read_b128 v[112:115], v125 offset:1568
	;; [unrolled: 1-line block ×5, first 2 shown]
	s_and_saveexec_b64 s[0:1], vcc
	s_cbranch_execz .LBB0_11
; %bb.10:
	v_lshl_add_u32 v48, v122, 4, v126
	ds_read_b128 v[92:95], v125 offset:672
	ds_read_b128 v[24:27], v48 offset:1456
	;; [unrolled: 1-line block ×6, first 2 shown]
.LBB0_11:
	s_or_b64 exec, exec, s[0:1]
	s_waitcnt lgkmcnt(1)
	v_add_f64 v[132:133], v[112:113], v[116:117]
	s_mov_b32 s0, 0xe8584caa
	v_add_f64 v[130:131], v[96:97], v[112:113]
	v_fmac_f64_e32 v[96:97], -0.5, v[132:133]
	v_add_f64 v[132:133], v[114:115], -v[118:119]
	s_mov_b32 s1, 0xbfebb67a
	s_mov_b32 s3, 0x3febb67a
	;; [unrolled: 1-line block ×3, first 2 shown]
	v_fma_f64 v[134:135], s[0:1], v[132:133], v[96:97]
	v_fmac_f64_e32 v[96:97], s[2:3], v[132:133]
	v_add_f64 v[132:133], v[98:99], v[114:115]
	v_add_f64 v[114:115], v[114:115], v[118:119]
	v_fmac_f64_e32 v[98:99], -0.5, v[114:115]
	v_add_f64 v[112:113], v[112:113], -v[116:117]
	v_add_f64 v[132:133], v[132:133], v[118:119]
	v_fma_f64 v[118:119], s[2:3], v[112:113], v[98:99]
	v_fmac_f64_e32 v[98:99], s[0:1], v[112:113]
	v_add_f64 v[112:113], v[100:101], v[104:105]
	v_add_f64 v[130:131], v[130:131], v[116:117]
	s_waitcnt lgkmcnt(0)
	v_add_f64 v[116:117], v[112:113], v[108:109]
	v_add_f64 v[112:113], v[104:105], v[108:109]
	v_fmac_f64_e32 v[100:101], -0.5, v[112:113]
	v_add_f64 v[112:113], v[106:107], -v[110:111]
	v_fma_f64 v[114:115], s[0:1], v[112:113], v[100:101]
	v_fmac_f64_e32 v[100:101], s[2:3], v[112:113]
	v_add_f64 v[112:113], v[102:103], v[106:107]
	v_add_f64 v[106:107], v[106:107], v[110:111]
	v_fmac_f64_e32 v[102:103], -0.5, v[106:107]
	v_add_f64 v[104:105], v[104:105], -v[108:109]
	v_add_f64 v[136:137], v[112:113], v[110:111]
	v_fma_f64 v[110:111], s[2:3], v[104:105], v[102:103]
	v_fmac_f64_e32 v[102:103], s[0:1], v[104:105]
	v_mul_f64 v[138:139], v[110:111], s[0:1]
	v_mul_f64 v[140:141], v[102:103], s[0:1]
	v_mul_f64 v[142:143], v[110:111], 0.5
	v_mul_f64 v[144:145], v[102:103], -0.5
	v_add_f64 v[104:105], v[130:131], v[116:117]
	v_fmac_f64_e32 v[138:139], 0.5, v[114:115]
	v_fmac_f64_e32 v[140:141], -0.5, v[100:101]
	v_add_f64 v[106:107], v[132:133], v[136:137]
	v_fmac_f64_e32 v[142:143], s[2:3], v[114:115]
	v_fmac_f64_e32 v[144:145], s[2:3], v[100:101]
	v_add_f64 v[108:109], v[134:135], v[138:139]
	v_add_f64 v[112:113], v[96:97], v[140:141]
	;; [unrolled: 1-line block ×4, first 2 shown]
	v_add_f64 v[100:101], v[130:131], -v[116:117]
	v_add_f64 v[116:117], v[134:135], -v[138:139]
	;; [unrolled: 1-line block ×6, first 2 shown]
	s_barrier
	ds_write_b128 v127, v[104:107]
	ds_write_b128 v127, v[108:111] offset:16
	ds_write_b128 v127, v[112:115] offset:32
	;; [unrolled: 1-line block ×5, first 2 shown]
	s_and_saveexec_b64 s[8:9], vcc
	s_cbranch_execz .LBB0_13
; %bb.12:
	v_add_f64 v[96:97], v[30:31], v[38:39]
	v_fma_f64 v[102:103], -0.5, v[96:97], v[94:95]
	v_add_f64 v[96:97], v[32:33], v[48:49]
	v_fma_f64 v[106:107], -0.5, v[96:97], v[24:25]
	;; [unrolled: 2-line block ×3, first 2 shown]
	v_add_f64 v[112:113], v[32:33], -v[48:49]
	v_add_f64 v[100:101], v[34:35], -v[50:51]
	v_fma_f64 v[114:115], s[0:1], v[112:113], v[110:111]
	v_add_f64 v[98:99], v[28:29], -v[36:37]
	v_fma_f64 v[108:109], s[2:3], v[100:101], v[106:107]
	v_mul_f64 v[116:117], v[114:115], -0.5
	v_fmac_f64_e32 v[110:111], s[2:3], v[112:113]
	v_add_f64 v[94:95], v[94:95], v[30:31]
	v_add_f64 v[26:27], v[26:27], v[34:35]
	v_add_f64 v[34:35], v[28:29], v[36:37]
	v_mul_f64 v[114:115], v[114:115], s[0:1]
	v_add_f64 v[28:29], v[92:93], v[28:29]
	v_add_f64 v[24:25], v[24:25], v[32:33]
	v_fmac_f64_e32 v[116:117], s[2:3], v[108:109]
	v_fmac_f64_e32 v[106:107], s[0:1], v[100:101]
	v_mul_f64 v[112:113], v[110:111], 0.5
	v_add_f64 v[118:119], v[94:95], v[38:39]
	v_add_f64 v[50:51], v[26:27], v[50:51]
	v_fma_f64 v[130:131], -0.5, v[34:35], v[92:93]
	v_add_f64 v[30:31], v[30:31], -v[38:39]
	v_fmac_f64_e32 v[114:115], -0.5, v[108:109]
	v_mul_f64 v[108:109], v[110:111], s[0:1]
	v_add_f64 v[36:37], v[28:29], v[36:37]
	v_add_f64 v[48:49], v[24:25], v[48:49]
	v_fma_f64 v[104:105], s[0:1], v[98:99], v[102:103]
	v_fmac_f64_e32 v[102:103], s[2:3], v[98:99]
	v_fmac_f64_e32 v[112:113], s[2:3], v[106:107]
	v_fma_f64 v[132:133], s[2:3], v[30:31], v[130:131]
	v_fmac_f64_e32 v[130:131], s[0:1], v[30:31]
	v_fmac_f64_e32 v[108:109], 0.5, v[106:107]
	v_add_f64 v[24:25], v[36:37], -v[48:49]
	v_add_f64 v[38:39], v[118:119], v[50:51]
	v_add_f64 v[36:37], v[36:37], v[48:49]
	v_lshl_add_u32 v48, v123, 4, v126
	v_add_f64 v[96:97], v[104:105], -v[116:117]
	v_add_f64 v[100:101], v[102:103], -v[112:113]
	;; [unrolled: 1-line block ×5, first 2 shown]
	v_add_f64 v[30:31], v[104:105], v[116:117]
	v_add_f64 v[34:35], v[102:103], v[112:113]
	;; [unrolled: 1-line block ×4, first 2 shown]
	ds_write_b128 v48, v[36:39]
	ds_write_b128 v48, v[32:35] offset:16
	ds_write_b128 v48, v[28:31] offset:32
	;; [unrolled: 1-line block ×5, first 2 shown]
.LBB0_13:
	s_or_b64 exec, exec, s[8:9]
	s_waitcnt lgkmcnt(0)
	s_barrier
	ds_read_b128 v[30:33], v125
	ds_read_b128 v[34:37], v125 offset:672
	ds_read_b128 v[48:51], v125 offset:1344
	;; [unrolled: 1-line block ×6, first 2 shown]
	s_waitcnt lgkmcnt(5)
	v_mul_f64 v[38:39], v[58:59], v[36:37]
	v_fmac_f64_e32 v[38:39], v[56:57], v[34:35]
	v_mul_f64 v[34:35], v[58:59], v[34:35]
	v_fma_f64 v[34:35], v[56:57], v[36:37], -v[34:35]
	s_waitcnt lgkmcnt(4)
	v_mul_f64 v[36:37], v[54:55], v[50:51]
	v_fmac_f64_e32 v[36:37], v[52:53], v[48:49]
	v_mul_f64 v[48:49], v[54:55], v[48:49]
	v_fma_f64 v[48:49], v[52:53], v[50:51], -v[48:49]
	s_waitcnt lgkmcnt(3)
	v_mul_f64 v[50:51], v[46:47], v[94:95]
	v_mul_f64 v[46:47], v[46:47], v[92:93]
	v_fmac_f64_e32 v[50:51], v[44:45], v[92:93]
	v_fma_f64 v[44:45], v[44:45], v[94:95], -v[46:47]
	s_waitcnt lgkmcnt(2)
	v_mul_f64 v[46:47], v[42:43], v[98:99]
	v_mul_f64 v[42:43], v[42:43], v[96:97]
	v_fmac_f64_e32 v[46:47], v[40:41], v[96:97]
	v_fma_f64 v[40:41], v[40:41], v[98:99], -v[42:43]
	s_waitcnt lgkmcnt(1)
	v_mul_f64 v[42:43], v[66:67], v[102:103]
	s_waitcnt lgkmcnt(0)
	v_mul_f64 v[54:55], v[62:63], v[106:107]
	v_fmac_f64_e32 v[42:43], v[64:65], v[100:101]
	v_mul_f64 v[52:53], v[66:67], v[100:101]
	v_fmac_f64_e32 v[54:55], v[60:61], v[104:105]
	v_mul_f64 v[56:57], v[62:63], v[104:105]
	v_fma_f64 v[52:53], v[64:65], v[102:103], -v[52:53]
	v_fma_f64 v[56:57], v[60:61], v[106:107], -v[56:57]
	v_add_f64 v[58:59], v[38:39], v[54:55]
	v_add_f64 v[38:39], v[38:39], -v[54:55]
	v_add_f64 v[54:55], v[36:37], v[42:43]
	v_add_f64 v[60:61], v[34:35], v[56:57]
	v_add_f64 v[34:35], v[34:35], -v[56:57]
	v_add_f64 v[56:57], v[48:49], v[52:53]
	v_add_f64 v[36:37], v[36:37], -v[42:43]
	v_add_f64 v[42:43], v[48:49], -v[52:53]
	v_add_f64 v[48:49], v[50:51], v[46:47]
	v_add_f64 v[52:53], v[44:45], v[40:41]
	v_add_f64 v[40:41], v[40:41], -v[44:45]
	v_add_f64 v[44:45], v[54:55], v[58:59]
	v_mad_u64_u32 v[26:27], s[0:1], s6, v124, 0
	v_add_f64 v[46:47], v[46:47], -v[50:51]
	v_add_f64 v[50:51], v[56:57], v[60:61]
	v_add_f64 v[44:45], v[48:49], v[44:45]
	v_mov_b32_e32 v24, s10
	v_mov_b32_e32 v25, s11
	v_add_f64 v[62:63], v[54:55], -v[58:59]
	v_add_f64 v[58:59], v[58:59], -v[48:49]
	;; [unrolled: 1-line block ×3, first 2 shown]
	v_add_f64 v[48:49], v[52:53], v[50:51]
	v_add_f64 v[30:31], v[30:31], v[44:45]
	s_mov_b32 s2, 0x37e14327
	s_mov_b32 s0, 0x36b3c0b5
	;; [unrolled: 1-line block ×5, first 2 shown]
	v_add_f64 v[64:65], v[56:57], -v[60:61]
	v_add_f64 v[60:61], v[60:61], -v[52:53]
	;; [unrolled: 1-line block ×3, first 2 shown]
	v_add_f64 v[66:67], v[46:47], v[36:37]
	v_add_f64 v[92:93], v[40:41], v[42:43]
	v_add_f64 v[94:95], v[46:47], -v[36:37]
	v_add_f64 v[96:97], v[40:41], -v[42:43]
	;; [unrolled: 1-line block ×4, first 2 shown]
	v_add_f64 v[32:33], v[32:33], v[48:49]
	s_mov_b32 s3, 0x3fe948f6
	s_mov_b32 s1, 0x3fac98ee
	;; [unrolled: 1-line block ×5, first 2 shown]
	v_mov_b64_e32 v[98:99], v[30:31]
	s_mov_b32 s14, 0x5476071b
	s_mov_b32 s18, 0xb247c609
	v_add_f64 v[46:47], v[38:39], -v[46:47]
	v_add_f64 v[40:41], v[34:35], -v[40:41]
	v_add_f64 v[38:39], v[66:67], v[38:39]
	v_add_f64 v[34:35], v[92:93], v[34:35]
	v_mul_f64 v[50:51], v[58:59], s[2:3]
	v_mul_f64 v[52:53], v[60:61], s[2:3]
	;; [unrolled: 1-line block ×8, first 2 shown]
	v_fmac_f64_e32 v[98:99], s[12:13], v[44:45]
	v_mov_b64_e32 v[44:45], v[32:33]
	s_mov_b32 s15, 0x3fe77f67
	s_mov_b32 s17, 0xbfe77f67
	;; [unrolled: 1-line block ×7, first 2 shown]
	v_fmac_f64_e32 v[44:45], s[12:13], v[48:49]
	v_fma_f64 v[48:49], v[62:63], s[14:15], -v[58:59]
	v_fma_f64 v[58:59], v[64:65], s[14:15], -v[60:61]
	;; [unrolled: 1-line block ×3, first 2 shown]
	v_fmac_f64_e32 v[50:51], s[0:1], v[54:55]
	v_fma_f64 v[54:55], v[64:65], s[16:17], -v[52:53]
	v_fmac_f64_e32 v[52:53], s[0:1], v[56:57]
	v_fma_f64 v[56:57], v[36:37], s[8:9], -v[66:67]
	;; [unrolled: 2-line block ×4, first 2 shown]
	v_fma_f64 v[94:95], v[40:41], s[22:23], -v[96:97]
	s_mov_b32 s21, 0xbfdc38aa
	v_add_f64 v[96:97], v[50:51], v[98:99]
	v_add_f64 v[100:101], v[52:53], v[44:45]
	;; [unrolled: 1-line block ×6, first 2 shown]
	v_fmac_f64_e32 v[66:67], s[20:21], v[38:39]
	v_fmac_f64_e32 v[92:93], s[20:21], v[34:35]
	v_fmac_f64_e32 v[56:57], s[20:21], v[38:39]
	v_fmac_f64_e32 v[62:63], s[20:21], v[34:35]
	v_fmac_f64_e32 v[64:65], s[20:21], v[38:39]
	v_fmac_f64_e32 v[94:95], s[20:21], v[34:35]
	v_add_f64 v[34:35], v[92:93], v[96:97]
	v_add_f64 v[36:37], v[100:101], -v[66:67]
	v_add_f64 v[38:39], v[94:95], v[50:51]
	v_add_f64 v[40:41], v[52:53], -v[64:65]
	v_add_f64 v[42:43], v[46:47], -v[62:63]
	v_add_f64 v[44:45], v[56:57], v[48:49]
	v_add_f64 v[46:47], v[62:63], v[46:47]
	v_add_f64 v[48:49], v[48:49], -v[56:57]
	v_add_f64 v[50:51], v[50:51], -v[94:95]
	v_add_f64 v[52:53], v[64:65], v[52:53]
	v_add_f64 v[54:55], v[96:97], -v[92:93]
	v_add_f64 v[56:57], v[66:67], v[100:101]
	s_barrier
	ds_write_b128 v128, v[30:33]
	ds_write_b128 v128, v[34:37] offset:96
	ds_write_b128 v128, v[38:41] offset:192
	ds_write_b128 v128, v[42:45] offset:288
	ds_write_b128 v128, v[46:49] offset:384
	ds_write_b128 v128, v[50:53] offset:480
	ds_write_b128 v128, v[54:57] offset:576
	s_waitcnt lgkmcnt(0)
	s_barrier
	ds_read_b128 v[30:33], v125
	ds_read_b128 v[34:37], v125 offset:672
	ds_read_b128 v[38:41], v125 offset:1344
	;; [unrolled: 1-line block ×6, first 2 shown]
	s_waitcnt lgkmcnt(5)
	v_mul_f64 v[58:59], v[82:83], v[36:37]
	v_fmac_f64_e32 v[58:59], v[80:81], v[34:35]
	v_mul_f64 v[34:35], v[82:83], v[34:35]
	v_fma_f64 v[34:35], v[80:81], v[36:37], -v[34:35]
	s_waitcnt lgkmcnt(4)
	v_mul_f64 v[36:37], v[78:79], v[40:41]
	v_fmac_f64_e32 v[36:37], v[76:77], v[38:39]
	v_mul_f64 v[38:39], v[78:79], v[38:39]
	v_fma_f64 v[38:39], v[76:77], v[40:41], -v[38:39]
	;; [unrolled: 5-line block ×6, first 2 shown]
	v_add_f64 v[56:57], v[58:59], v[52:53]
	v_add_f64 v[60:61], v[34:35], v[54:55]
	v_add_f64 v[34:35], v[34:35], -v[54:55]
	v_add_f64 v[54:55], v[36:37], v[48:49]
	v_add_f64 v[52:53], v[58:59], -v[52:53]
	;; [unrolled: 2-line block ×6, first 2 shown]
	v_add_f64 v[46:47], v[58:59], v[60:61]
	v_add_f64 v[44:45], v[48:49], v[44:45]
	;; [unrolled: 1-line block ×4, first 2 shown]
	v_add_f64 v[62:63], v[54:55], -v[56:57]
	v_add_f64 v[64:65], v[58:59], -v[60:61]
	;; [unrolled: 1-line block ×6, first 2 shown]
	v_add_f64 v[66:67], v[40:41], v[36:37]
	v_add_f64 v[68:69], v[42:43], v[38:39]
	v_add_f64 v[70:71], v[40:41], -v[36:37]
	v_add_f64 v[72:73], v[42:43], -v[38:39]
	;; [unrolled: 1-line block ×4, first 2 shown]
	v_add_f64 v[32:33], v[32:33], v[46:47]
	v_mov_b64_e32 v[74:75], v[30:31]
	v_add_f64 v[40:41], v[52:53], -v[40:41]
	v_add_f64 v[42:43], v[34:35], -v[42:43]
	v_add_f64 v[48:49], v[66:67], v[52:53]
	v_add_f64 v[34:35], v[68:69], v[34:35]
	v_mul_f64 v[50:51], v[56:57], s[2:3]
	v_mul_f64 v[52:53], v[60:61], s[2:3]
	;; [unrolled: 1-line block ×8, first 2 shown]
	v_fmac_f64_e32 v[74:75], s[12:13], v[44:45]
	v_mov_b64_e32 v[44:45], v[32:33]
	v_fmac_f64_e32 v[44:45], s[12:13], v[46:47]
	v_fma_f64 v[46:47], s[0:1], v[54:55], v[50:51]
	v_fma_f64 v[54:55], v[62:63], s[14:15], -v[56:57]
	v_fma_f64 v[56:57], v[64:65], s[14:15], -v[60:61]
	;; [unrolled: 1-line block ×4, first 2 shown]
	v_fmac_f64_e32 v[52:53], s[0:1], v[58:59]
	v_fma_f64 v[58:59], s[18:19], v[40:41], v[66:67]
	v_fma_f64 v[62:63], v[36:37], s[8:9], -v[66:67]
	v_fma_f64 v[64:65], v[38:39], s[8:9], -v[68:69]
	v_fmac_f64_e32 v[68:69], s[18:19], v[42:43]
	v_fma_f64 v[66:67], v[40:41], s[22:23], -v[70:71]
	v_fma_f64 v[70:71], v[42:43], s[22:23], -v[72:73]
	v_add_f64 v[72:73], v[46:47], v[74:75]
	v_add_f64 v[76:77], v[52:53], v[44:45]
	;; [unrolled: 1-line block ×6, first 2 shown]
	v_fmac_f64_e32 v[58:59], s[20:21], v[48:49]
	v_fmac_f64_e32 v[68:69], s[20:21], v[34:35]
	;; [unrolled: 1-line block ×6, first 2 shown]
	v_add_f64 v[34:35], v[68:69], v[72:73]
	v_add_f64 v[36:37], v[76:77], -v[58:59]
	v_add_f64 v[38:39], v[70:71], v[50:51]
	v_add_f64 v[40:41], v[54:55], -v[66:67]
	v_add_f64 v[42:43], v[46:47], -v[64:65]
	v_add_f64 v[44:45], v[62:63], v[52:53]
	v_add_f64 v[46:47], v[64:65], v[46:47]
	v_add_f64 v[48:49], v[52:53], -v[62:63]
	v_add_f64 v[50:51], v[50:51], -v[70:71]
	v_add_f64 v[52:53], v[66:67], v[54:55]
	v_add_f64 v[54:55], v[72:73], -v[68:69]
	v_add_f64 v[56:57], v[58:59], v[76:77]
	ds_write_b128 v125, v[30:33]
	ds_write_b128 v125, v[34:37] offset:672
	ds_write_b128 v125, v[38:41] offset:1344
	;; [unrolled: 1-line block ×6, first 2 shown]
	s_waitcnt lgkmcnt(0)
	s_barrier
	ds_read_b128 v[30:33], v125
	ds_read_b128 v[34:37], v125 offset:784
	v_mov_b32_e32 v28, v27
	v_mad_u64_u32 v[28:29], s[0:1], s7, v124, v[28:29]
	v_mov_b32_e32 v27, v28
	s_waitcnt lgkmcnt(1)
	v_mul_f64 v[28:29], v[2:3], v[32:33]
	s_mov_b32 s0, 0x899406f7
	v_mul_f64 v[2:3], v[2:3], v[30:31]
	v_fmac_f64_e32 v[28:29], v[0:1], v[30:31]
	s_mov_b32 s1, 0x3f6bdd2b
	v_fma_f64 v[0:1], v[0:1], v[32:33], -v[2:3]
	v_mul_f64 v[30:31], v[0:1], s[0:1]
	v_mad_u64_u32 v[0:1], s[2:3], s4, v122, 0
	v_mov_b32_e32 v2, v1
	v_mad_u64_u32 v[2:3], s[2:3], s5, v122, v[2:3]
	v_mov_b32_e32 v1, v2
	v_lshl_add_u64 v[2:3], v[26:27], 4, v[24:25]
	s_mul_i32 s2, s5, 49
	s_mul_hi_u32 s3, s4, 49
	v_lshl_add_u64 v[24:25], v[0:1], 4, v[2:3]
	s_waitcnt lgkmcnt(0)
	v_mul_f64 v[0:1], v[22:23], v[36:37]
	v_mul_f64 v[2:3], v[22:23], v[34:35]
	s_add_i32 s3, s3, s2
	s_mul_i32 s2, s4, 49
	v_mul_f64 v[28:29], v[28:29], s[0:1]
	v_fmac_f64_e32 v[0:1], v[20:21], v[34:35]
	v_fma_f64 v[2:3], v[20:21], v[36:37], -v[2:3]
	ds_read_b128 v[20:23], v125 offset:1568
	s_lshl_b64 s[2:3], s[2:3], 4
	global_store_dwordx4 v[24:25], v[28:31], off
	v_mul_f64 v[0:1], v[0:1], s[0:1]
	v_mul_f64 v[2:3], v[2:3], s[0:1]
	v_lshl_add_u64 v[28:29], v[24:25], 0, s[2:3]
	global_store_dwordx4 v[28:29], v[0:3], off
	ds_read_b128 v[0:3], v125 offset:2352
	s_waitcnt lgkmcnt(1)
	v_mul_f64 v[24:25], v[6:7], v[22:23]
	v_mul_f64 v[6:7], v[6:7], v[20:21]
	v_fmac_f64_e32 v[24:25], v[4:5], v[20:21]
	v_fma_f64 v[4:5], v[4:5], v[22:23], -v[6:7]
	v_mul_f64 v[26:27], v[4:5], s[0:1]
	s_waitcnt lgkmcnt(0)
	v_mul_f64 v[4:5], v[18:19], v[2:3]
	v_fmac_f64_e32 v[4:5], v[16:17], v[0:1]
	v_mul_f64 v[0:1], v[18:19], v[0:1]
	v_mul_f64 v[24:25], v[24:25], s[0:1]
	v_lshl_add_u64 v[20:21], v[28:29], 0, s[2:3]
	v_fma_f64 v[6:7], v[16:17], v[2:3], -v[0:1]
	ds_read_b128 v[0:3], v125 offset:3136
	global_store_dwordx4 v[20:21], v[24:27], off
	v_mul_f64 v[4:5], v[4:5], s[0:1]
	v_mul_f64 v[6:7], v[6:7], s[0:1]
	v_lshl_add_u64 v[20:21], v[20:21], 0, s[2:3]
	global_store_dwordx4 v[20:21], v[4:7], off
	ds_read_b128 v[4:7], v125 offset:3920
	s_waitcnt lgkmcnt(1)
	v_mul_f64 v[16:17], v[10:11], v[2:3]
	v_fmac_f64_e32 v[16:17], v[8:9], v[0:1]
	v_mul_f64 v[0:1], v[10:11], v[0:1]
	v_fma_f64 v[0:1], v[8:9], v[2:3], -v[0:1]
	s_waitcnt lgkmcnt(0)
	v_mul_f64 v[2:3], v[14:15], v[6:7]
	v_fmac_f64_e32 v[2:3], v[12:13], v[4:5]
	v_mul_f64 v[4:5], v[14:15], v[4:5]
	v_mul_f64 v[16:17], v[16:17], s[0:1]
	;; [unrolled: 1-line block ×3, first 2 shown]
	v_lshl_add_u64 v[0:1], v[20:21], 0, s[2:3]
	v_fma_f64 v[4:5], v[12:13], v[6:7], -v[4:5]
	global_store_dwordx4 v[0:1], v[16:19], off
	v_mul_f64 v[2:3], v[2:3], s[0:1]
	v_mul_f64 v[4:5], v[4:5], s[0:1]
	v_lshl_add_u64 v[0:1], v[0:1], 0, s[2:3]
	global_store_dwordx4 v[0:1], v[2:5], off
	s_and_b64 exec, exec, vcc
	s_cbranch_execz .LBB0_15
; %bb.14:
	s_movk_i32 s6, 0x1000
	v_add_co_u32_e32 v22, vcc, s6, v120
	global_load_dwordx4 v[2:5], v[120:121], off offset:672
	global_load_dwordx4 v[6:9], v[120:121], off offset:1456
	;; [unrolled: 1-line block ×5, first 2 shown]
	v_addc_co_u32_e32 v23, vcc, 0, v121, vcc
	global_load_dwordx4 v[22:25], v[22:23], off offset:496
	v_mov_b32_e32 v50, 0xfffff350
	s_mulk_i32 s5, 0xf350
	ds_read_b128 v[26:29], v125 offset:672
	ds_read_b128 v[30:33], v125 offset:1456
	;; [unrolled: 1-line block ×6, first 2 shown]
	v_mad_u64_u32 v[50:51], s[6:7], s4, v50, v[0:1]
	s_sub_i32 s4, s5, s4
	v_add_u32_e32 v51, s4, v51
	v_lshl_add_u64 v[52:53], v[50:51], 0, s[2:3]
	v_lshl_add_u64 v[54:55], v[52:53], 0, s[2:3]
	;; [unrolled: 1-line block ×4, first 2 shown]
	s_waitcnt vmcnt(5) lgkmcnt(5)
	v_mul_f64 v[0:1], v[28:29], v[4:5]
	v_mul_f64 v[4:5], v[26:27], v[4:5]
	s_waitcnt vmcnt(4) lgkmcnt(4)
	v_mul_f64 v[60:61], v[32:33], v[8:9]
	v_mul_f64 v[8:9], v[30:31], v[8:9]
	;; [unrolled: 3-line block ×5, first 2 shown]
	v_fmac_f64_e32 v[0:1], v[26:27], v[2:3]
	v_fma_f64 v[2:3], v[2:3], v[28:29], -v[4:5]
	v_fmac_f64_e32 v[60:61], v[30:31], v[6:7]
	v_fma_f64 v[6:7], v[6:7], v[32:33], -v[8:9]
	;; [unrolled: 2-line block ×5, first 2 shown]
	v_mul_f64 v[0:1], v[0:1], s[0:1]
	v_mul_f64 v[2:3], v[2:3], s[0:1]
	s_waitcnt vmcnt(0) lgkmcnt(0)
	v_mul_f64 v[20:21], v[48:49], v[24:25]
	v_mul_f64 v[24:25], v[46:47], v[24:25]
	;; [unrolled: 1-line block ×10, first 2 shown]
	global_store_dwordx4 v[50:51], v[0:3], off
	global_store_dwordx4 v[52:53], v[4:7], off
	;; [unrolled: 1-line block ×5, first 2 shown]
	v_fmac_f64_e32 v[20:21], v[46:47], v[22:23]
	v_fma_f64 v[2:3], v[22:23], v[48:49], -v[24:25]
	v_mul_f64 v[0:1], v[20:21], s[0:1]
	v_mul_f64 v[2:3], v[2:3], s[0:1]
	v_lshl_add_u64 v[4:5], v[58:59], 0, s[2:3]
	global_store_dwordx4 v[4:5], v[0:3], off
.LBB0_15:
	s_endpgm
	.section	.rodata,"a",@progbits
	.p2align	6, 0x0
	.amdhsa_kernel bluestein_single_fwd_len294_dim1_dp_op_CI_CI
		.amdhsa_group_segment_fixed_size 14112
		.amdhsa_private_segment_fixed_size 0
		.amdhsa_kernarg_size 104
		.amdhsa_user_sgpr_count 2
		.amdhsa_user_sgpr_dispatch_ptr 0
		.amdhsa_user_sgpr_queue_ptr 0
		.amdhsa_user_sgpr_kernarg_segment_ptr 1
		.amdhsa_user_sgpr_dispatch_id 0
		.amdhsa_user_sgpr_kernarg_preload_length 0
		.amdhsa_user_sgpr_kernarg_preload_offset 0
		.amdhsa_user_sgpr_private_segment_size 0
		.amdhsa_uses_dynamic_stack 0
		.amdhsa_enable_private_segment 0
		.amdhsa_system_sgpr_workgroup_id_x 1
		.amdhsa_system_sgpr_workgroup_id_y 0
		.amdhsa_system_sgpr_workgroup_id_z 0
		.amdhsa_system_sgpr_workgroup_info 0
		.amdhsa_system_vgpr_workitem_id 0
		.amdhsa_next_free_vgpr 166
		.amdhsa_next_free_sgpr 30
		.amdhsa_accum_offset 168
		.amdhsa_reserve_vcc 1
		.amdhsa_float_round_mode_32 0
		.amdhsa_float_round_mode_16_64 0
		.amdhsa_float_denorm_mode_32 3
		.amdhsa_float_denorm_mode_16_64 3
		.amdhsa_dx10_clamp 1
		.amdhsa_ieee_mode 1
		.amdhsa_fp16_overflow 0
		.amdhsa_tg_split 0
		.amdhsa_exception_fp_ieee_invalid_op 0
		.amdhsa_exception_fp_denorm_src 0
		.amdhsa_exception_fp_ieee_div_zero 0
		.amdhsa_exception_fp_ieee_overflow 0
		.amdhsa_exception_fp_ieee_underflow 0
		.amdhsa_exception_fp_ieee_inexact 0
		.amdhsa_exception_int_div_zero 0
	.end_amdhsa_kernel
	.text
.Lfunc_end0:
	.size	bluestein_single_fwd_len294_dim1_dp_op_CI_CI, .Lfunc_end0-bluestein_single_fwd_len294_dim1_dp_op_CI_CI
                                        ; -- End function
	.section	.AMDGPU.csdata,"",@progbits
; Kernel info:
; codeLenInByte = 8996
; NumSgprs: 36
; NumVgprs: 166
; NumAgprs: 0
; TotalNumVgprs: 166
; ScratchSize: 0
; MemoryBound: 0
; FloatMode: 240
; IeeeMode: 1
; LDSByteSize: 14112 bytes/workgroup (compile time only)
; SGPRBlocks: 4
; VGPRBlocks: 20
; NumSGPRsForWavesPerEU: 36
; NumVGPRsForWavesPerEU: 166
; AccumOffset: 168
; Occupancy: 3
; WaveLimiterHint : 1
; COMPUTE_PGM_RSRC2:SCRATCH_EN: 0
; COMPUTE_PGM_RSRC2:USER_SGPR: 2
; COMPUTE_PGM_RSRC2:TRAP_HANDLER: 0
; COMPUTE_PGM_RSRC2:TGID_X_EN: 1
; COMPUTE_PGM_RSRC2:TGID_Y_EN: 0
; COMPUTE_PGM_RSRC2:TGID_Z_EN: 0
; COMPUTE_PGM_RSRC2:TIDIG_COMP_CNT: 0
; COMPUTE_PGM_RSRC3_GFX90A:ACCUM_OFFSET: 41
; COMPUTE_PGM_RSRC3_GFX90A:TG_SPLIT: 0
	.text
	.p2alignl 6, 3212836864
	.fill 256, 4, 3212836864
	.type	__hip_cuid_ca2d0cc9566167f6,@object ; @__hip_cuid_ca2d0cc9566167f6
	.section	.bss,"aw",@nobits
	.globl	__hip_cuid_ca2d0cc9566167f6
__hip_cuid_ca2d0cc9566167f6:
	.byte	0                               ; 0x0
	.size	__hip_cuid_ca2d0cc9566167f6, 1

	.ident	"AMD clang version 19.0.0git (https://github.com/RadeonOpenCompute/llvm-project roc-6.4.0 25133 c7fe45cf4b819c5991fe208aaa96edf142730f1d)"
	.section	".note.GNU-stack","",@progbits
	.addrsig
	.addrsig_sym __hip_cuid_ca2d0cc9566167f6
	.amdgpu_metadata
---
amdhsa.kernels:
  - .agpr_count:     0
    .args:
      - .actual_access:  read_only
        .address_space:  global
        .offset:         0
        .size:           8
        .value_kind:     global_buffer
      - .actual_access:  read_only
        .address_space:  global
        .offset:         8
        .size:           8
        .value_kind:     global_buffer
      - .actual_access:  read_only
        .address_space:  global
        .offset:         16
        .size:           8
        .value_kind:     global_buffer
      - .actual_access:  read_only
        .address_space:  global
        .offset:         24
        .size:           8
        .value_kind:     global_buffer
      - .actual_access:  read_only
        .address_space:  global
        .offset:         32
        .size:           8
        .value_kind:     global_buffer
      - .offset:         40
        .size:           8
        .value_kind:     by_value
      - .address_space:  global
        .offset:         48
        .size:           8
        .value_kind:     global_buffer
      - .address_space:  global
        .offset:         56
        .size:           8
        .value_kind:     global_buffer
      - .address_space:  global
        .offset:         64
        .size:           8
        .value_kind:     global_buffer
      - .address_space:  global
        .offset:         72
        .size:           8
        .value_kind:     global_buffer
      - .offset:         80
        .size:           4
        .value_kind:     by_value
      - .address_space:  global
        .offset:         88
        .size:           8
        .value_kind:     global_buffer
      - .address_space:  global
        .offset:         96
        .size:           8
        .value_kind:     global_buffer
    .group_segment_fixed_size: 14112
    .kernarg_segment_align: 8
    .kernarg_segment_size: 104
    .language:       OpenCL C
    .language_version:
      - 2
      - 0
    .max_flat_workgroup_size: 126
    .name:           bluestein_single_fwd_len294_dim1_dp_op_CI_CI
    .private_segment_fixed_size: 0
    .sgpr_count:     36
    .sgpr_spill_count: 0
    .symbol:         bluestein_single_fwd_len294_dim1_dp_op_CI_CI.kd
    .uniform_work_group_size: 1
    .uses_dynamic_stack: false
    .vgpr_count:     166
    .vgpr_spill_count: 0
    .wavefront_size: 64
amdhsa.target:   amdgcn-amd-amdhsa--gfx950
amdhsa.version:
  - 1
  - 2
...

	.end_amdgpu_metadata
